;; amdgpu-corpus repo=ROCm/rocFFT kind=compiled arch=gfx1100 opt=O3
	.text
	.amdgcn_target "amdgcn-amd-amdhsa--gfx1100"
	.amdhsa_code_object_version 6
	.protected	fft_rtc_fwd_len960_factors_16_10_6_wgs_160_tpt_160_dp_op_CI_CI_unitstride_sbrr_dirReg ; -- Begin function fft_rtc_fwd_len960_factors_16_10_6_wgs_160_tpt_160_dp_op_CI_CI_unitstride_sbrr_dirReg
	.globl	fft_rtc_fwd_len960_factors_16_10_6_wgs_160_tpt_160_dp_op_CI_CI_unitstride_sbrr_dirReg
	.p2align	8
	.type	fft_rtc_fwd_len960_factors_16_10_6_wgs_160_tpt_160_dp_op_CI_CI_unitstride_sbrr_dirReg,@function
fft_rtc_fwd_len960_factors_16_10_6_wgs_160_tpt_160_dp_op_CI_CI_unitstride_sbrr_dirReg: ; @fft_rtc_fwd_len960_factors_16_10_6_wgs_160_tpt_160_dp_op_CI_CI_unitstride_sbrr_dirReg
; %bb.0:
	s_clause 0x2
	s_load_b128 s[8:11], s[0:1], 0x0
	s_load_b128 s[4:7], s[0:1], 0x58
	;; [unrolled: 1-line block ×3, first 2 shown]
	v_mul_u32_u24_e32 v1, 0x19a, v0
	v_mov_b32_e32 v3, 0
	s_delay_alu instid0(VALU_DEP_2) | instskip(NEXT) | instid1(VALU_DEP_1)
	v_lshrrev_b32_e32 v1, 16, v1
	v_add_nc_u32_e32 v5, s15, v1
	v_mov_b32_e32 v1, 0
	v_mov_b32_e32 v2, 0
	;; [unrolled: 1-line block ×3, first 2 shown]
	s_waitcnt lgkmcnt(0)
	v_cmp_lt_u64_e64 s2, s[10:11], 2
	s_delay_alu instid0(VALU_DEP_1)
	s_and_b32 vcc_lo, exec_lo, s2
	s_cbranch_vccnz .LBB0_8
; %bb.1:
	s_load_b64 s[2:3], s[0:1], 0x10
	v_mov_b32_e32 v1, 0
	v_mov_b32_e32 v2, 0
	s_add_u32 s12, s18, 8
	s_addc_u32 s13, s19, 0
	s_add_u32 s14, s16, 8
	s_addc_u32 s15, s17, 0
	v_dual_mov_b32 v65, v2 :: v_dual_mov_b32 v64, v1
	s_mov_b64 s[22:23], 1
	s_waitcnt lgkmcnt(0)
	s_add_u32 s20, s2, 8
	s_addc_u32 s21, s3, 0
.LBB0_2:                                ; =>This Inner Loop Header: Depth=1
	s_load_b64 s[24:25], s[20:21], 0x0
                                        ; implicit-def: $vgpr66_vgpr67
	s_mov_b32 s2, exec_lo
	s_waitcnt lgkmcnt(0)
	v_or_b32_e32 v4, s25, v6
	s_delay_alu instid0(VALU_DEP_1)
	v_cmpx_ne_u64_e32 0, v[3:4]
	s_xor_b32 s3, exec_lo, s2
	s_cbranch_execz .LBB0_4
; %bb.3:                                ;   in Loop: Header=BB0_2 Depth=1
	v_cvt_f32_u32_e32 v4, s24
	v_cvt_f32_u32_e32 v7, s25
	s_sub_u32 s2, 0, s24
	s_subb_u32 s26, 0, s25
	s_delay_alu instid0(VALU_DEP_1) | instskip(NEXT) | instid1(VALU_DEP_1)
	v_fmac_f32_e32 v4, 0x4f800000, v7
	v_rcp_f32_e32 v4, v4
	s_waitcnt_depctr 0xfff
	v_mul_f32_e32 v4, 0x5f7ffffc, v4
	s_delay_alu instid0(VALU_DEP_1) | instskip(NEXT) | instid1(VALU_DEP_1)
	v_mul_f32_e32 v7, 0x2f800000, v4
	v_trunc_f32_e32 v7, v7
	s_delay_alu instid0(VALU_DEP_1) | instskip(SKIP_1) | instid1(VALU_DEP_2)
	v_fmac_f32_e32 v4, 0xcf800000, v7
	v_cvt_u32_f32_e32 v7, v7
	v_cvt_u32_f32_e32 v4, v4
	s_delay_alu instid0(VALU_DEP_2) | instskip(NEXT) | instid1(VALU_DEP_2)
	v_mul_lo_u32 v8, s2, v7
	v_mul_hi_u32 v9, s2, v4
	v_mul_lo_u32 v10, s26, v4
	s_delay_alu instid0(VALU_DEP_2) | instskip(SKIP_1) | instid1(VALU_DEP_2)
	v_add_nc_u32_e32 v8, v9, v8
	v_mul_lo_u32 v9, s2, v4
	v_add_nc_u32_e32 v8, v8, v10
	s_delay_alu instid0(VALU_DEP_2) | instskip(NEXT) | instid1(VALU_DEP_2)
	v_mul_hi_u32 v10, v4, v9
	v_mul_lo_u32 v11, v4, v8
	v_mul_hi_u32 v12, v4, v8
	v_mul_hi_u32 v13, v7, v9
	v_mul_lo_u32 v9, v7, v9
	v_mul_hi_u32 v14, v7, v8
	v_mul_lo_u32 v8, v7, v8
	v_add_co_u32 v10, vcc_lo, v10, v11
	v_add_co_ci_u32_e32 v11, vcc_lo, 0, v12, vcc_lo
	s_delay_alu instid0(VALU_DEP_2) | instskip(NEXT) | instid1(VALU_DEP_2)
	v_add_co_u32 v9, vcc_lo, v10, v9
	v_add_co_ci_u32_e32 v9, vcc_lo, v11, v13, vcc_lo
	v_add_co_ci_u32_e32 v10, vcc_lo, 0, v14, vcc_lo
	s_delay_alu instid0(VALU_DEP_2) | instskip(NEXT) | instid1(VALU_DEP_2)
	v_add_co_u32 v8, vcc_lo, v9, v8
	v_add_co_ci_u32_e32 v9, vcc_lo, 0, v10, vcc_lo
	s_delay_alu instid0(VALU_DEP_2) | instskip(NEXT) | instid1(VALU_DEP_2)
	v_add_co_u32 v4, vcc_lo, v4, v8
	v_add_co_ci_u32_e32 v7, vcc_lo, v7, v9, vcc_lo
	s_delay_alu instid0(VALU_DEP_2) | instskip(SKIP_1) | instid1(VALU_DEP_3)
	v_mul_hi_u32 v8, s2, v4
	v_mul_lo_u32 v10, s26, v4
	v_mul_lo_u32 v9, s2, v7
	s_delay_alu instid0(VALU_DEP_1) | instskip(SKIP_1) | instid1(VALU_DEP_2)
	v_add_nc_u32_e32 v8, v8, v9
	v_mul_lo_u32 v9, s2, v4
	v_add_nc_u32_e32 v8, v8, v10
	s_delay_alu instid0(VALU_DEP_2) | instskip(NEXT) | instid1(VALU_DEP_2)
	v_mul_hi_u32 v10, v4, v9
	v_mul_lo_u32 v11, v4, v8
	v_mul_hi_u32 v12, v4, v8
	v_mul_hi_u32 v13, v7, v9
	v_mul_lo_u32 v9, v7, v9
	v_mul_hi_u32 v14, v7, v8
	v_mul_lo_u32 v8, v7, v8
	v_add_co_u32 v10, vcc_lo, v10, v11
	v_add_co_ci_u32_e32 v11, vcc_lo, 0, v12, vcc_lo
	s_delay_alu instid0(VALU_DEP_2) | instskip(NEXT) | instid1(VALU_DEP_2)
	v_add_co_u32 v9, vcc_lo, v10, v9
	v_add_co_ci_u32_e32 v9, vcc_lo, v11, v13, vcc_lo
	v_add_co_ci_u32_e32 v10, vcc_lo, 0, v14, vcc_lo
	s_delay_alu instid0(VALU_DEP_2) | instskip(NEXT) | instid1(VALU_DEP_2)
	v_add_co_u32 v8, vcc_lo, v9, v8
	v_add_co_ci_u32_e32 v9, vcc_lo, 0, v10, vcc_lo
	s_delay_alu instid0(VALU_DEP_2) | instskip(NEXT) | instid1(VALU_DEP_2)
	v_add_co_u32 v4, vcc_lo, v4, v8
	v_add_co_ci_u32_e32 v13, vcc_lo, v7, v9, vcc_lo
	s_delay_alu instid0(VALU_DEP_2) | instskip(SKIP_1) | instid1(VALU_DEP_3)
	v_mul_hi_u32 v14, v5, v4
	v_mad_u64_u32 v[9:10], null, v6, v4, 0
	v_mad_u64_u32 v[7:8], null, v5, v13, 0
	;; [unrolled: 1-line block ×3, first 2 shown]
	s_delay_alu instid0(VALU_DEP_2) | instskip(NEXT) | instid1(VALU_DEP_3)
	v_add_co_u32 v4, vcc_lo, v14, v7
	v_add_co_ci_u32_e32 v7, vcc_lo, 0, v8, vcc_lo
	s_delay_alu instid0(VALU_DEP_2) | instskip(NEXT) | instid1(VALU_DEP_2)
	v_add_co_u32 v4, vcc_lo, v4, v9
	v_add_co_ci_u32_e32 v4, vcc_lo, v7, v10, vcc_lo
	v_add_co_ci_u32_e32 v7, vcc_lo, 0, v12, vcc_lo
	s_delay_alu instid0(VALU_DEP_2) | instskip(NEXT) | instid1(VALU_DEP_2)
	v_add_co_u32 v4, vcc_lo, v4, v11
	v_add_co_ci_u32_e32 v9, vcc_lo, 0, v7, vcc_lo
	s_delay_alu instid0(VALU_DEP_2) | instskip(SKIP_1) | instid1(VALU_DEP_3)
	v_mul_lo_u32 v10, s25, v4
	v_mad_u64_u32 v[7:8], null, s24, v4, 0
	v_mul_lo_u32 v11, s24, v9
	s_delay_alu instid0(VALU_DEP_2) | instskip(NEXT) | instid1(VALU_DEP_2)
	v_sub_co_u32 v7, vcc_lo, v5, v7
	v_add3_u32 v8, v8, v11, v10
	s_delay_alu instid0(VALU_DEP_1) | instskip(NEXT) | instid1(VALU_DEP_1)
	v_sub_nc_u32_e32 v10, v6, v8
	v_subrev_co_ci_u32_e64 v10, s2, s25, v10, vcc_lo
	v_add_co_u32 v11, s2, v4, 2
	s_delay_alu instid0(VALU_DEP_1) | instskip(SKIP_3) | instid1(VALU_DEP_3)
	v_add_co_ci_u32_e64 v12, s2, 0, v9, s2
	v_sub_co_u32 v13, s2, v7, s24
	v_sub_co_ci_u32_e32 v8, vcc_lo, v6, v8, vcc_lo
	v_subrev_co_ci_u32_e64 v10, s2, 0, v10, s2
	v_cmp_le_u32_e32 vcc_lo, s24, v13
	s_delay_alu instid0(VALU_DEP_3) | instskip(SKIP_1) | instid1(VALU_DEP_4)
	v_cmp_eq_u32_e64 s2, s25, v8
	v_cndmask_b32_e64 v13, 0, -1, vcc_lo
	v_cmp_le_u32_e32 vcc_lo, s25, v10
	v_cndmask_b32_e64 v14, 0, -1, vcc_lo
	v_cmp_le_u32_e32 vcc_lo, s24, v7
	;; [unrolled: 2-line block ×3, first 2 shown]
	v_cndmask_b32_e64 v15, 0, -1, vcc_lo
	v_cmp_eq_u32_e32 vcc_lo, s25, v10
	s_delay_alu instid0(VALU_DEP_2) | instskip(SKIP_3) | instid1(VALU_DEP_3)
	v_cndmask_b32_e64 v7, v15, v7, s2
	v_cndmask_b32_e32 v10, v14, v13, vcc_lo
	v_add_co_u32 v13, vcc_lo, v4, 1
	v_add_co_ci_u32_e32 v14, vcc_lo, 0, v9, vcc_lo
	v_cmp_ne_u32_e32 vcc_lo, 0, v10
	s_delay_alu instid0(VALU_DEP_2) | instskip(NEXT) | instid1(VALU_DEP_4)
	v_cndmask_b32_e32 v8, v14, v12, vcc_lo
	v_cndmask_b32_e32 v10, v13, v11, vcc_lo
	v_cmp_ne_u32_e32 vcc_lo, 0, v7
	s_delay_alu instid0(VALU_DEP_2)
	v_dual_cndmask_b32 v67, v9, v8 :: v_dual_cndmask_b32 v66, v4, v10
.LBB0_4:                                ;   in Loop: Header=BB0_2 Depth=1
	s_and_not1_saveexec_b32 s2, s3
	s_cbranch_execz .LBB0_6
; %bb.5:                                ;   in Loop: Header=BB0_2 Depth=1
	v_cvt_f32_u32_e32 v4, s24
	s_sub_i32 s3, 0, s24
	v_mov_b32_e32 v67, v3
	s_delay_alu instid0(VALU_DEP_2) | instskip(SKIP_2) | instid1(VALU_DEP_1)
	v_rcp_iflag_f32_e32 v4, v4
	s_waitcnt_depctr 0xfff
	v_mul_f32_e32 v4, 0x4f7ffffe, v4
	v_cvt_u32_f32_e32 v4, v4
	s_delay_alu instid0(VALU_DEP_1) | instskip(NEXT) | instid1(VALU_DEP_1)
	v_mul_lo_u32 v7, s3, v4
	v_mul_hi_u32 v7, v4, v7
	s_delay_alu instid0(VALU_DEP_1) | instskip(NEXT) | instid1(VALU_DEP_1)
	v_add_nc_u32_e32 v4, v4, v7
	v_mul_hi_u32 v4, v5, v4
	s_delay_alu instid0(VALU_DEP_1) | instskip(SKIP_1) | instid1(VALU_DEP_2)
	v_mul_lo_u32 v7, v4, s24
	v_add_nc_u32_e32 v8, 1, v4
	v_sub_nc_u32_e32 v7, v5, v7
	s_delay_alu instid0(VALU_DEP_1) | instskip(SKIP_1) | instid1(VALU_DEP_2)
	v_subrev_nc_u32_e32 v9, s24, v7
	v_cmp_le_u32_e32 vcc_lo, s24, v7
	v_dual_cndmask_b32 v7, v7, v9 :: v_dual_cndmask_b32 v4, v4, v8
	s_delay_alu instid0(VALU_DEP_1) | instskip(NEXT) | instid1(VALU_DEP_2)
	v_cmp_le_u32_e32 vcc_lo, s24, v7
	v_add_nc_u32_e32 v8, 1, v4
	s_delay_alu instid0(VALU_DEP_1)
	v_cndmask_b32_e32 v66, v4, v8, vcc_lo
.LBB0_6:                                ;   in Loop: Header=BB0_2 Depth=1
	s_or_b32 exec_lo, exec_lo, s2
	s_delay_alu instid0(VALU_DEP_1) | instskip(NEXT) | instid1(VALU_DEP_2)
	v_mul_lo_u32 v4, v67, s24
	v_mul_lo_u32 v9, v66, s25
	s_load_b64 s[2:3], s[14:15], 0x0
	v_mad_u64_u32 v[7:8], null, v66, s24, 0
	s_load_b64 s[24:25], s[12:13], 0x0
	s_add_u32 s22, s22, 1
	s_addc_u32 s23, s23, 0
	s_add_u32 s12, s12, 8
	s_addc_u32 s13, s13, 0
	s_add_u32 s14, s14, 8
	s_delay_alu instid0(VALU_DEP_1) | instskip(SKIP_3) | instid1(VALU_DEP_2)
	v_add3_u32 v4, v8, v9, v4
	v_sub_co_u32 v8, vcc_lo, v5, v7
	s_addc_u32 s15, s15, 0
	s_add_u32 s20, s20, 8
	v_sub_co_ci_u32_e32 v6, vcc_lo, v6, v4, vcc_lo
	s_addc_u32 s21, s21, 0
	s_waitcnt lgkmcnt(0)
	s_delay_alu instid0(VALU_DEP_1)
	v_mul_lo_u32 v9, s2, v6
	v_mul_lo_u32 v10, s3, v8
	v_mad_u64_u32 v[4:5], null, s2, v8, v[1:2]
	v_mul_lo_u32 v11, s24, v6
	v_mul_lo_u32 v12, s25, v8
	v_mad_u64_u32 v[6:7], null, s24, v8, v[64:65]
	v_cmp_ge_u64_e64 s2, s[22:23], s[10:11]
	v_add3_u32 v2, v10, v5, v9
	s_delay_alu instid0(VALU_DEP_3) | instskip(NEXT) | instid1(VALU_DEP_4)
	v_dual_mov_b32 v1, v4 :: v_dual_mov_b32 v64, v6
	v_add3_u32 v65, v12, v7, v11
	s_delay_alu instid0(VALU_DEP_4)
	s_and_b32 vcc_lo, exec_lo, s2
	s_cbranch_vccnz .LBB0_9
; %bb.7:                                ;   in Loop: Header=BB0_2 Depth=1
	v_dual_mov_b32 v5, v66 :: v_dual_mov_b32 v6, v67
	s_branch .LBB0_2
.LBB0_8:
	v_dual_mov_b32 v65, v2 :: v_dual_mov_b32 v64, v1
	v_dual_mov_b32 v67, v6 :: v_dual_mov_b32 v66, v5
.LBB0_9:
	s_load_b64 s[0:1], s[0:1], 0x28
	v_mul_hi_u32 v3, 0x199999a, v0
	s_lshl_b64 s[10:11], s[10:11], 3
                                        ; implicit-def: $vgpr68
	s_delay_alu instid0(SALU_CYCLE_1) | instskip(SKIP_4) | instid1(VALU_DEP_1)
	s_add_u32 s2, s18, s10
	s_addc_u32 s3, s19, s11
	s_waitcnt lgkmcnt(0)
	v_cmp_gt_u64_e32 vcc_lo, s[0:1], v[66:67]
	v_cmp_le_u64_e64 s0, s[0:1], v[66:67]
	s_and_saveexec_b32 s1, s0
	s_delay_alu instid0(SALU_CYCLE_1)
	s_xor_b32 s0, exec_lo, s1
; %bb.10:
	v_mul_u32_u24_e32 v1, 0xa0, v3
                                        ; implicit-def: $vgpr3
	s_delay_alu instid0(VALU_DEP_1)
	v_sub_nc_u32_e32 v68, v0, v1
                                        ; implicit-def: $vgpr0
                                        ; implicit-def: $vgpr1_vgpr2
; %bb.11:
	s_and_not1_saveexec_b32 s1, s0
	s_cbranch_execz .LBB0_13
; %bb.12:
	s_add_u32 s10, s16, s10
	s_addc_u32 s11, s17, s11
	v_lshlrev_b64 v[1:2], 4, v[1:2]
	s_load_b64 s[10:11], s[10:11], 0x0
	s_waitcnt lgkmcnt(0)
	v_mul_lo_u32 v6, s11, v66
	v_mul_lo_u32 v7, s10, v67
	v_mad_u64_u32 v[4:5], null, s10, v66, 0
	s_delay_alu instid0(VALU_DEP_1) | instskip(SKIP_1) | instid1(VALU_DEP_2)
	v_add3_u32 v5, v5, v7, v6
	v_mul_u32_u24_e32 v6, 0xa0, v3
	v_lshlrev_b64 v[3:4], 4, v[4:5]
	s_delay_alu instid0(VALU_DEP_2) | instskip(NEXT) | instid1(VALU_DEP_1)
	v_sub_nc_u32_e32 v68, v0, v6
	v_lshlrev_b32_e32 v24, 4, v68
	s_delay_alu instid0(VALU_DEP_3) | instskip(NEXT) | instid1(VALU_DEP_1)
	v_add_co_u32 v0, s0, s4, v3
	v_add_co_ci_u32_e64 v3, s0, s5, v4, s0
	s_delay_alu instid0(VALU_DEP_2) | instskip(NEXT) | instid1(VALU_DEP_1)
	v_add_co_u32 v0, s0, v0, v1
	v_add_co_ci_u32_e64 v1, s0, v3, v2, s0
	s_delay_alu instid0(VALU_DEP_2) | instskip(NEXT) | instid1(VALU_DEP_1)
	v_add_co_u32 v4, s0, v0, v24
	v_add_co_ci_u32_e64 v5, s0, 0, v1, s0
	v_add_nc_u32_e32 v24, 0, v24
	s_delay_alu instid0(VALU_DEP_3) | instskip(NEXT) | instid1(VALU_DEP_1)
	v_add_co_u32 v12, s0, 0x1000, v4
	v_add_co_ci_u32_e64 v13, s0, 0, v5, s0
	v_add_co_u32 v16, s0, 0x2000, v4
	s_delay_alu instid0(VALU_DEP_1) | instskip(SKIP_1) | instid1(VALU_DEP_1)
	v_add_co_ci_u32_e64 v17, s0, 0, v5, s0
	v_add_co_u32 v20, s0, 0x3000, v4
	v_add_co_ci_u32_e64 v21, s0, 0, v5, s0
	s_clause 0x5
	global_load_b128 v[0:3], v[4:5], off
	global_load_b128 v[4:7], v[4:5], off offset:2560
	global_load_b128 v[8:11], v[12:13], off offset:1024
	;; [unrolled: 1-line block ×5, first 2 shown]
	s_waitcnt vmcnt(5)
	ds_store_b128 v24, v[0:3]
	s_waitcnt vmcnt(4)
	ds_store_b128 v24, v[4:7] offset:2560
	s_waitcnt vmcnt(3)
	ds_store_b128 v24, v[8:11] offset:5120
	s_waitcnt vmcnt(2)
	ds_store_b128 v24, v[12:15] offset:7680
	s_waitcnt vmcnt(1)
	ds_store_b128 v24, v[16:19] offset:10240
	s_waitcnt vmcnt(0)
	ds_store_b128 v24, v[20:23] offset:12800
.LBB0_13:
	s_or_b32 exec_lo, exec_lo, s1
	s_delay_alu instid0(VALU_DEP_1)
	v_lshl_add_u32 v69, v68, 4, 0
	s_waitcnt lgkmcnt(0)
	s_barrier
	buffer_gl0_inv
	s_mov_b32 s0, 0x667f3bcd
	ds_load_b128 v[0:3], v69 offset:7680
	ds_load_b128 v[4:7], v69
	ds_load_b128 v[8:11], v69 offset:3840
	ds_load_b128 v[12:15], v69 offset:11520
	ds_load_b128 v[16:19], v69 offset:1920
	ds_load_b128 v[20:23], v69 offset:9600
	ds_load_b128 v[24:27], v69 offset:5760
	ds_load_b128 v[28:31], v69 offset:13440
	ds_load_b128 v[32:35], v69 offset:960
	ds_load_b128 v[36:39], v69 offset:8640
	ds_load_b128 v[40:43], v69 offset:4800
	ds_load_b128 v[44:47], v69 offset:12480
	ds_load_b128 v[48:51], v69 offset:2880
	ds_load_b128 v[52:55], v69 offset:10560
	ds_load_b128 v[56:59], v69 offset:6720
	ds_load_b128 v[60:63], v69 offset:14400
	s_mov_b32 s1, 0xbfe6a09e
	s_mov_b32 s5, 0x3fe6a09e
	;; [unrolled: 1-line block ×5, first 2 shown]
	s_waitcnt lgkmcnt(14)
	v_add_f64 v[0:1], v[4:5], -v[0:1]
	v_add_f64 v[2:3], v[6:7], -v[2:3]
	s_waitcnt lgkmcnt(12)
	v_add_f64 v[12:13], v[8:9], -v[12:13]
	v_add_f64 v[14:15], v[10:11], -v[14:15]
	;; [unrolled: 3-line block ×8, first 2 shown]
	s_mov_b32 s11, 0xbfed906b
	s_mov_b32 s13, 0xbfd87de2
	s_mov_b32 s15, 0x3fd87de2
	s_mov_b32 s17, 0x3fed906b
	s_mov_b32 s14, s12
	s_mov_b32 s16, s10
	s_barrier
	buffer_gl0_inv
	v_fma_f64 v[4:5], v[4:5], 2.0, -v[0:1]
	v_fma_f64 v[6:7], v[6:7], 2.0, -v[2:3]
	v_add_f64 v[72:73], v[2:3], v[12:13]
	v_add_f64 v[70:71], v[0:1], -v[14:15]
	v_fma_f64 v[8:9], v[8:9], 2.0, -v[12:13]
	v_fma_f64 v[10:11], v[10:11], 2.0, -v[14:15]
	v_add_f64 v[76:77], v[22:23], v[28:29]
	v_add_f64 v[74:75], v[20:21], -v[30:31]
	v_fma_f64 v[12:13], v[16:17], 2.0, -v[20:21]
	v_fma_f64 v[14:15], v[18:19], 2.0, -v[22:23]
	v_add_f64 v[80:81], v[38:39], v[44:45]
	v_add_f64 v[78:79], v[36:37], -v[46:47]
	v_fma_f64 v[16:17], v[24:25], 2.0, -v[28:29]
	v_fma_f64 v[18:19], v[26:27], 2.0, -v[30:31]
	v_add_f64 v[82:83], v[52:53], -v[62:63]
	v_add_f64 v[84:85], v[54:55], v[60:61]
	v_fma_f64 v[24:25], v[32:33], 2.0, -v[36:37]
	v_fma_f64 v[26:27], v[34:35], 2.0, -v[38:39]
	;; [unrolled: 1-line block ×10, first 2 shown]
	v_add_f64 v[8:9], v[4:5], -v[8:9]
	v_add_f64 v[10:11], v[6:7], -v[10:11]
	v_fma_f64 v[22:23], v[22:23], 2.0, -v[76:77]
	v_fma_f64 v[20:21], v[20:21], 2.0, -v[74:75]
	v_fma_f64 v[48:49], v[74:75], s[4:5], v[70:71]
	v_fma_f64 v[50:51], v[76:77], s[4:5], v[72:73]
	v_fma_f64 v[38:39], v[38:39], 2.0, -v[80:81]
	v_fma_f64 v[36:37], v[36:37], 2.0, -v[78:79]
	v_add_f64 v[16:17], v[12:13], -v[16:17]
	v_add_f64 v[18:19], v[14:15], -v[18:19]
	v_fma_f64 v[44:45], v[52:53], 2.0, -v[82:83]
	v_fma_f64 v[46:47], v[54:55], 2.0, -v[84:85]
	v_fma_f64 v[52:53], v[82:83], s[4:5], v[78:79]
	v_fma_f64 v[54:55], v[84:85], s[4:5], v[80:81]
	v_add_f64 v[28:29], v[24:25], -v[28:29]
	v_add_f64 v[30:31], v[26:27], -v[30:31]
	;; [unrolled: 1-line block ×4, first 2 shown]
	v_fma_f64 v[4:5], v[4:5], 2.0, -v[8:9]
	v_fma_f64 v[6:7], v[6:7], 2.0, -v[10:11]
	v_fma_f64 v[58:59], v[22:23], s[0:1], v[2:3]
	v_fma_f64 v[56:57], v[20:21], s[0:1], v[0:1]
	;; [unrolled: 1-line block ×4, first 2 shown]
	v_fma_f64 v[12:13], v[12:13], 2.0, -v[16:17]
	v_fma_f64 v[14:15], v[14:15], 2.0, -v[18:19]
	v_fma_f64 v[60:61], v[44:45], s[0:1], v[36:37]
	v_fma_f64 v[62:63], v[46:47], s[0:1], v[38:39]
	v_add_f64 v[86:87], v[8:9], -v[18:19]
	v_add_f64 v[88:89], v[10:11], v[16:17]
	v_fma_f64 v[24:25], v[24:25], 2.0, -v[28:29]
	v_fma_f64 v[26:27], v[26:27], 2.0, -v[30:31]
	;; [unrolled: 1-line block ×4, first 2 shown]
	v_add_f64 v[32:33], v[28:29], -v[42:43]
	v_add_f64 v[34:35], v[30:31], v[40:41]
	v_fma_f64 v[42:43], v[84:85], s[0:1], v[52:53]
	v_fma_f64 v[40:41], v[82:83], s[4:5], v[54:55]
	;; [unrolled: 1-line block ×4, first 2 shown]
	v_fma_f64 v[70:71], v[70:71], 2.0, -v[76:77]
	v_fma_f64 v[72:73], v[72:73], 2.0, -v[74:75]
	v_add_f64 v[12:13], v[4:5], -v[12:13]
	v_add_f64 v[14:15], v[6:7], -v[14:15]
	v_fma_f64 v[54:55], v[46:47], s[0:1], v[60:61]
	v_fma_f64 v[52:53], v[44:45], s[4:5], v[62:63]
	v_fma_f64 v[82:83], v[8:9], 2.0, -v[86:87]
	v_fma_f64 v[84:85], v[10:11], 2.0, -v[88:89]
	v_add_f64 v[8:9], v[24:25], -v[16:17]
	v_add_f64 v[10:11], v[26:27], -v[18:19]
	v_fma_f64 v[28:29], v[28:29], 2.0, -v[32:33]
	v_fma_f64 v[30:31], v[30:31], 2.0, -v[34:35]
	;; [unrolled: 1-line block ×4, first 2 shown]
	v_fma_f64 v[16:17], v[32:33], s[4:5], v[86:87]
	v_fma_f64 v[18:19], v[34:35], s[4:5], v[88:89]
	;; [unrolled: 1-line block ×3, first 2 shown]
	v_fma_f64 v[80:81], v[2:3], 2.0, -v[20:21]
	v_fma_f64 v[78:79], v[0:1], 2.0, -v[22:23]
	;; [unrolled: 1-line block ×6, first 2 shown]
	v_fma_f64 v[36:37], v[42:43], s[16:17], v[76:77]
	v_fma_f64 v[24:25], v[24:25], 2.0, -v[8:9]
	v_fma_f64 v[26:27], v[26:27], 2.0, -v[10:11]
	v_fma_f64 v[38:39], v[28:29], s[0:1], v[82:83]
	v_fma_f64 v[62:63], v[30:31], s[0:1], v[84:85]
	v_fma_f64 v[90:91], v[58:59], s[12:13], v[70:71]
	v_fma_f64 v[92:93], v[56:57], s[12:13], v[72:73]
	v_add_f64 v[48:49], v[12:13], -v[10:11]
	v_add_f64 v[50:51], v[14:15], v[8:9]
	v_fma_f64 v[8:9], v[54:55], s[14:15], v[22:23]
	v_fma_f64 v[10:11], v[52:53], s[14:15], v[20:21]
	;; [unrolled: 1-line block ×8, first 2 shown]
	v_add_f64 v[16:17], v[4:5], -v[24:25]
	v_add_f64 v[18:19], v[6:7], -v[26:27]
	v_fma_f64 v[60:61], v[30:31], s[0:1], v[38:39]
	v_fma_f64 v[62:63], v[28:29], s[4:5], v[62:63]
	;; [unrolled: 1-line block ×4, first 2 shown]
	s_mov_b32 s1, exec_lo
	v_fma_f64 v[52:53], v[52:53], s[10:11], v[8:9]
	v_fma_f64 v[54:55], v[54:55], s[16:17], v[10:11]
	v_fma_f64 v[8:9], v[12:13], 2.0, -v[48:49]
	v_fma_f64 v[10:11], v[14:15], 2.0, -v[50:51]
	;; [unrolled: 1-line block ×5, first 2 shown]
	v_fma_f64 v[36:37], v[2:3], s[12:13], v[94:95]
	v_fma_f64 v[38:39], v[0:1], s[14:15], v[96:97]
	v_fma_f64 v[32:33], v[76:77], 2.0, -v[40:41]
	v_fma_f64 v[0:1], v[4:5], 2.0, -v[16:17]
	;; [unrolled: 1-line block ×11, first 2 shown]
	v_cmpx_gt_u32_e32 60, v68
	s_cbranch_execz .LBB0_15
; %bb.14:
	v_mad_u32_u24 v70, 0xf0, v68, v69
	ds_store_b128 v70, v[0:3]
	ds_store_b128 v70, v[20:23] offset:16
	ds_store_b128 v70, v[4:7] offset:32
	;; [unrolled: 1-line block ×15, first 2 shown]
.LBB0_15:
	s_or_b32 exec_lo, exec_lo, s1
	v_cmp_gt_u32_e64 s0, 0x60, v68
	s_waitcnt lgkmcnt(0)
	s_barrier
	buffer_gl0_inv
	s_and_saveexec_b32 s1, s0
	s_cbranch_execz .LBB0_17
; %bb.16:
	ds_load_b128 v[0:3], v69
	ds_load_b128 v[20:23], v69 offset:1536
	ds_load_b128 v[4:7], v69 offset:3072
	;; [unrolled: 1-line block ×9, first 2 shown]
.LBB0_17:
	s_or_b32 exec_lo, exec_lo, s1
	s_waitcnt lgkmcnt(0)
	s_barrier
	buffer_gl0_inv
	s_and_saveexec_b32 s14, s0
	s_cbranch_execz .LBB0_19
; %bb.18:
	v_and_b32_e32 v40, 15, v68
	s_mov_b32 s0, 0x134454ff
	s_mov_b32 s1, 0x3fee6f0e
	;; [unrolled: 1-line block ×4, first 2 shown]
	v_mul_u32_u24_e32 v41, 9, v40
	s_mov_b32 s10, 0x4755a5e
	s_mov_b32 s11, 0x3fe2cf23
	s_mov_b32 s13, 0xbfe2cf23
	s_mov_b32 s12, s10
	v_lshlrev_b32_e32 v61, 4, v41
	s_mov_b32 s16, 0x372fe950
	s_mov_b32 s17, 0x3fd3c6ef
	;; [unrolled: 1-line block ×4, first 2 shown]
	s_clause 0x8
	global_load_b128 v[41:44], v61, s[8:9] offset:32
	global_load_b128 v[45:48], v61, s[8:9] offset:64
	;; [unrolled: 1-line block ×4, first 2 shown]
	global_load_b128 v[57:60], v61, s[8:9]
	global_load_b128 v[70:73], v61, s[8:9] offset:16
	global_load_b128 v[74:77], v61, s[8:9] offset:48
	;; [unrolled: 1-line block ×4, first 2 shown]
	s_waitcnt vmcnt(8)
	v_mul_f64 v[61:62], v[30:31], v[43:44]
	v_mul_f64 v[43:44], v[28:29], v[43:44]
	s_waitcnt vmcnt(7)
	v_mul_f64 v[86:87], v[24:25], v[47:48]
	s_waitcnt vmcnt(6)
	;; [unrolled: 2-line block ×3, first 2 shown]
	v_mul_f64 v[90:91], v[36:37], v[55:56]
	v_mul_f64 v[55:56], v[38:39], v[55:56]
	v_fma_f64 v[28:29], v[28:29], v[41:42], -v[61:62]
	v_fma_f64 v[30:31], v[30:31], v[41:42], v[43:44]
	v_mul_f64 v[41:42], v[26:27], v[47:48]
	v_mul_f64 v[43:44], v[34:35], v[51:52]
	s_waitcnt vmcnt(4)
	v_mul_f64 v[47:48], v[22:23], v[59:60]
	v_mul_f64 v[51:52], v[20:21], v[59:60]
	v_fma_f64 v[26:27], v[26:27], v[45:46], v[86:87]
	v_fma_f64 v[34:35], v[34:35], v[49:50], v[88:89]
	;; [unrolled: 1-line block ×3, first 2 shown]
	v_fma_f64 v[36:37], v[36:37], v[53:54], -v[55:56]
	s_waitcnt vmcnt(2)
	v_mul_f64 v[53:54], v[10:11], v[76:77]
	s_waitcnt vmcnt(0)
	v_mul_f64 v[55:56], v[14:15], v[84:85]
	v_mul_f64 v[59:60], v[6:7], v[72:73]
	;; [unrolled: 1-line block ×3, first 2 shown]
	v_fma_f64 v[24:25], v[24:25], v[45:46], -v[41:42]
	v_fma_f64 v[32:33], v[32:33], v[49:50], -v[43:44]
	v_mul_f64 v[41:42], v[4:5], v[72:73]
	v_mul_f64 v[43:44], v[8:9], v[76:77]
	;; [unrolled: 1-line block ×4, first 2 shown]
	v_fma_f64 v[20:21], v[20:21], v[57:58], -v[47:48]
	v_fma_f64 v[22:23], v[22:23], v[57:58], v[51:52]
	v_add_f64 v[47:48], v[26:27], v[34:35]
	v_add_f64 v[51:52], v[30:31], v[38:39]
	;; [unrolled: 1-line block ×3, first 2 shown]
	v_fma_f64 v[8:9], v[8:9], v[74:75], -v[53:54]
	v_fma_f64 v[12:13], v[12:13], v[82:83], -v[55:56]
	;; [unrolled: 1-line block ×4, first 2 shown]
	v_add_f64 v[53:54], v[30:31], -v[38:39]
	v_add_f64 v[80:81], v[34:35], -v[38:39]
	;; [unrolled: 1-line block ×3, first 2 shown]
	v_add_f64 v[72:73], v[24:25], v[32:33]
	v_fma_f64 v[6:7], v[6:7], v[70:71], v[41:42]
	v_fma_f64 v[10:11], v[10:11], v[74:75], v[43:44]
	;; [unrolled: 1-line block ×4, first 2 shown]
	v_add_f64 v[41:42], v[28:29], -v[36:37]
	v_add_f64 v[43:44], v[24:25], -v[32:33]
	;; [unrolled: 1-line block ×3, first 2 shown]
	v_fma_f64 v[47:48], v[47:48], -0.5, v[22:23]
	v_fma_f64 v[49:50], v[51:52], -0.5, v[22:23]
	;; [unrolled: 1-line block ×3, first 2 shown]
	v_add_f64 v[61:62], v[8:9], v[12:13]
	v_add_f64 v[74:75], v[38:39], -v[34:35]
	v_add_f64 v[70:71], v[4:5], v[16:17]
	v_add_f64 v[78:79], v[26:27], -v[30:31]
	v_add_f64 v[82:83], v[32:33], -v[36:37]
	;; [unrolled: 1-line block ×4, first 2 shown]
	v_add_f64 v[22:23], v[22:23], v[30:31]
	v_fma_f64 v[55:56], v[72:73], -0.5, v[20:21]
	v_add_f64 v[72:73], v[30:31], -v[26:27]
	v_add_f64 v[20:21], v[20:21], v[28:29]
	v_add_f64 v[59:60], v[6:7], v[18:19]
	;; [unrolled: 1-line block ×5, first 2 shown]
	v_fma_f64 v[84:85], v[41:42], s[0:1], v[47:48]
	v_fma_f64 v[86:87], v[43:44], s[4:5], v[49:50]
	;; [unrolled: 1-line block ×6, first 2 shown]
	v_add_f64 v[78:79], v[78:79], v[80:81]
	v_add_f64 v[76:77], v[76:77], v[82:83]
	;; [unrolled: 1-line block ×3, first 2 shown]
	v_fma_f64 v[94:95], v[53:54], s[0:1], v[55:56]
	v_fma_f64 v[55:56], v[53:54], s[4:5], v[55:56]
	v_add_f64 v[72:73], v[72:73], v[74:75]
	v_add_f64 v[74:75], v[6:7], -v[18:19]
	v_fma_f64 v[57:58], v[57:58], -0.5, v[2:3]
	v_fma_f64 v[2:3], v[59:60], -0.5, v[2:3]
	;; [unrolled: 1-line block ×4, first 2 shown]
	v_add_f64 v[61:62], v[4:5], -v[16:17]
	v_add_f64 v[70:71], v[8:9], -v[12:13]
	v_fma_f64 v[80:81], v[43:44], s[10:11], v[84:85]
	v_fma_f64 v[82:83], v[41:42], s[10:11], v[86:87]
	;; [unrolled: 1-line block ×3, first 2 shown]
	v_add_f64 v[88:89], v[90:91], v[92:93]
	v_fma_f64 v[43:44], v[43:44], s[12:13], v[47:48]
	v_add_f64 v[86:87], v[10:11], -v[14:15]
	v_fma_f64 v[41:42], v[41:42], s[12:13], v[49:50]
	v_fma_f64 v[47:48], v[53:54], s[12:13], v[51:52]
	v_add_f64 v[49:50], v[6:7], -v[10:11]
	v_add_f64 v[6:7], v[10:11], -v[6:7]
	v_add_f64 v[10:11], v[28:29], v[10:11]
	v_add_f64 v[20:21], v[20:21], v[24:25]
	v_add_f64 v[51:52], v[18:19], -v[14:15]
	v_add_f64 v[53:54], v[14:15], -v[18:19]
	;; [unrolled: 1-line block ×3, first 2 shown]
	v_fma_f64 v[90:91], v[45:46], s[10:11], v[94:95]
	v_fma_f64 v[45:46], v[45:46], s[12:13], v[55:56]
	v_add_f64 v[55:56], v[4:5], -v[8:9]
	v_add_f64 v[4:5], v[8:9], -v[4:5]
	v_add_f64 v[8:9], v[30:31], v[8:9]
	v_add_f64 v[94:95], v[12:13], -v[16:17]
	v_fma_f64 v[30:31], v[74:75], s[4:5], v[59:60]
	v_fma_f64 v[59:60], v[74:75], s[0:1], v[59:60]
	;; [unrolled: 1-line block ×14, first 2 shown]
	v_add_f64 v[10:11], v[10:11], v[14:15]
	v_add_f64 v[14:15], v[22:23], v[34:35]
	;; [unrolled: 1-line block ×4, first 2 shown]
	v_fma_f64 v[90:91], v[88:89], s[16:17], v[90:91]
	v_fma_f64 v[45:46], v[88:89], s[16:17], v[45:46]
	v_add_f64 v[51:52], v[55:56], v[92:93]
	v_add_f64 v[8:9], v[8:9], v[12:13]
	;; [unrolled: 1-line block ×4, first 2 shown]
	v_fma_f64 v[53:54], v[86:87], s[10:11], v[59:60]
	v_fma_f64 v[20:21], v[70:71], s[10:11], v[24:25]
	;; [unrolled: 1-line block ×5, first 2 shown]
	v_mul_f64 v[30:31], v[80:81], s[16:17]
	v_fma_f64 v[2:3], v[61:62], s[12:13], v[2:3]
	v_mul_f64 v[59:60], v[43:44], s[10:11]
	v_mul_f64 v[28:29], v[57:58], s[18:19]
	;; [unrolled: 1-line block ×3, first 2 shown]
	v_fma_f64 v[0:1], v[74:75], s[10:11], v[0:1]
	v_mul_f64 v[61:62], v[41:42], s[0:1]
	v_fma_f64 v[34:35], v[74:75], s[12:13], v[84:85]
	v_mul_f64 v[70:71], v[47:48], s[16:17]
	v_add_f64 v[10:11], v[10:11], v[18:19]
	v_add_f64 v[14:15], v[14:15], v[38:39]
	v_mul_f64 v[55:56], v[90:91], s[12:13]
	v_mul_f64 v[72:73], v[45:46], s[18:19]
	v_add_f64 v[8:9], v[8:9], v[16:17]
	v_add_f64 v[12:13], v[12:13], v[36:37]
	v_fma_f64 v[16:17], v[49:50], s[16:17], v[20:21]
	v_fma_f64 v[20:21], v[6:7], s[16:17], v[22:23]
	;; [unrolled: 1-line block ×4, first 2 shown]
	v_fma_f64 v[24:25], v[47:48], s[4:5], -v[30:31]
	v_fma_f64 v[47:48], v[51:52], s[16:17], v[53:54]
	v_fma_f64 v[51:52], v[90:91], s[18:19], v[59:60]
	;; [unrolled: 1-line block ×3, first 2 shown]
	v_fma_f64 v[22:23], v[45:46], s[12:13], -v[28:29]
	v_fma_f64 v[28:29], v[41:42], s[16:17], v[32:33]
	v_fma_f64 v[45:46], v[4:5], s[16:17], v[0:1]
	;; [unrolled: 1-line block ×4, first 2 shown]
	v_add_f64 v[6:7], v[10:11], v[14:15]
	v_add_f64 v[2:3], v[10:11], -v[14:15]
	v_fma_f64 v[43:44], v[43:44], s[18:19], v[55:56]
	v_fma_f64 v[55:56], v[80:81], s[0:1], -v[70:71]
	v_fma_f64 v[57:58], v[57:58], s[10:11], -v[72:73]
	v_add_f64 v[4:5], v[8:9], v[12:13]
	v_add_f64 v[0:1], v[8:9], -v[12:13]
	v_add_f64 v[14:15], v[20:21], -v[24:25]
	v_add_f64 v[26:27], v[20:21], v[24:25]
	v_add_f64 v[32:33], v[47:48], v[51:52]
	v_add_f64 v[10:11], v[16:17], -v[22:23]
	v_add_f64 v[18:19], v[36:37], -v[28:29]
	v_add_f64 v[30:31], v[36:37], v[28:29]
	v_add_f64 v[28:29], v[45:46], v[53:54]
	;; [unrolled: 1-line block ×3, first 2 shown]
	v_add_f64 v[36:37], v[47:48], -v[51:52]
	v_add_f64 v[16:17], v[45:46], -v[53:54]
	v_add_f64 v[34:35], v[38:39], v[43:44]
	v_add_f64 v[24:25], v[41:42], v[55:56]
	;; [unrolled: 1-line block ×3, first 2 shown]
	v_add_f64 v[38:39], v[38:39], -v[43:44]
	v_add_f64 v[12:13], v[41:42], -v[55:56]
	;; [unrolled: 1-line block ×3, first 2 shown]
	v_lshrrev_b32_e32 v41, 4, v68
	s_delay_alu instid0(VALU_DEP_1) | instskip(NEXT) | instid1(VALU_DEP_1)
	v_mul_u32_u24_e32 v41, 0xa0, v41
	v_or_b32_e32 v40, v41, v40
	s_delay_alu instid0(VALU_DEP_1)
	v_lshl_add_u32 v40, v40, 4, 0
	ds_store_b128 v40, v[4:7]
	ds_store_b128 v40, v[32:35] offset:256
	ds_store_b128 v40, v[28:31] offset:512
	;; [unrolled: 1-line block ×9, first 2 shown]
.LBB0_19:
	s_or_b32 exec_lo, exec_lo, s14
	v_mul_u32_u24_e32 v0, 5, v68
	s_load_b64 s[0:1], s[2:3], 0x0
	s_waitcnt lgkmcnt(0)
	s_barrier
	buffer_gl0_inv
	v_lshlrev_b32_e32 v16, 4, v0
	s_mov_b32 s2, 0xe8584caa
	s_mov_b32 s3, 0x3febb67a
	;; [unrolled: 1-line block ×4, first 2 shown]
	s_clause 0x4
	global_load_b128 v[0:3], v16, s[8:9] offset:2336
	global_load_b128 v[4:7], v16, s[8:9] offset:2368
	;; [unrolled: 1-line block ×5, first 2 shown]
	ds_load_b128 v[20:23], v69 offset:7680
	ds_load_b128 v[24:27], v69 offset:12800
	;; [unrolled: 1-line block ×3, first 2 shown]
	s_waitcnt vmcnt(4) lgkmcnt(2)
	v_mul_f64 v[32:33], v[22:23], v[2:3]
	v_mul_f64 v[2:3], v[20:21], v[2:3]
	s_waitcnt vmcnt(3) lgkmcnt(1)
	v_mul_f64 v[34:35], v[24:25], v[6:7]
	v_mul_f64 v[6:7], v[26:27], v[6:7]
	;; [unrolled: 3-line block ×3, first 2 shown]
	v_fma_f64 v[20:21], v[20:21], v[0:1], -v[32:33]
	v_fma_f64 v[22:23], v[22:23], v[0:1], v[2:3]
	v_fma_f64 v[26:27], v[26:27], v[4:5], v[34:35]
	v_fma_f64 v[24:25], v[24:25], v[4:5], -v[6:7]
	ds_load_b128 v[0:3], v69 offset:5120
	ds_load_b128 v[4:7], v69 offset:10240
	v_fma_f64 v[28:29], v[28:29], v[8:9], -v[36:37]
	v_fma_f64 v[8:9], v[30:31], v[8:9], v[10:11]
	s_waitcnt vmcnt(1) lgkmcnt(1)
	v_mul_f64 v[32:33], v[2:3], v[14:15]
	v_mul_f64 v[14:15], v[0:1], v[14:15]
	s_waitcnt vmcnt(0) lgkmcnt(0)
	v_mul_f64 v[34:35], v[6:7], v[18:19]
	v_mul_f64 v[18:19], v[4:5], v[18:19]
	v_add_f64 v[10:11], v[22:23], v[26:27]
	v_add_f64 v[30:31], v[20:21], v[24:25]
	v_fma_f64 v[32:33], v[0:1], v[12:13], -v[32:33]
	v_fma_f64 v[12:13], v[2:3], v[12:13], v[14:15]
	v_fma_f64 v[4:5], v[4:5], v[16:17], -v[34:35]
	v_fma_f64 v[6:7], v[6:7], v[16:17], v[18:19]
	v_add_f64 v[0:1], v[22:23], -v[26:27]
	v_add_f64 v[2:3], v[20:21], -v[24:25]
	v_add_f64 v[20:21], v[28:29], v[20:21]
	v_fma_f64 v[10:11], v[10:11], -0.5, v[8:9]
	v_fma_f64 v[14:15], v[30:31], -0.5, v[28:29]
	v_add_f64 v[8:9], v[8:9], v[22:23]
	v_add_f64 v[16:17], v[32:33], v[4:5]
	;; [unrolled: 1-line block ×3, first 2 shown]
	v_add_f64 v[38:39], v[12:13], -v[6:7]
	v_fma_f64 v[30:31], v[2:3], s[4:5], v[10:11]
	v_fma_f64 v[34:35], v[0:1], s[4:5], v[14:15]
	;; [unrolled: 1-line block ×4, first 2 shown]
	ds_load_b128 v[0:3], v69
	v_add_f64 v[8:9], v[8:9], v[26:27]
	s_waitcnt lgkmcnt(0)
	s_barrier
	buffer_gl0_inv
	v_add_f64 v[36:37], v[0:1], v[32:33]
	v_add_f64 v[12:13], v[2:3], v[12:13]
	v_fma_f64 v[0:1], v[16:17], -0.5, v[0:1]
	v_add_f64 v[16:17], v[32:33], -v[4:5]
	v_fma_f64 v[2:3], v[18:19], -0.5, v[2:3]
	v_mul_f64 v[18:19], v[30:31], s[2:3]
	v_mul_f64 v[22:23], v[34:35], -0.5
	v_mul_f64 v[28:29], v[14:15], s[4:5]
	v_mul_f64 v[32:33], v[10:11], -0.5
	v_add_f64 v[4:5], v[36:37], v[4:5]
	v_add_f64 v[6:7], v[12:13], v[6:7]
	;; [unrolled: 1-line block ×3, first 2 shown]
	v_fma_f64 v[20:21], v[38:39], s[2:3], v[0:1]
	v_fma_f64 v[26:27], v[16:17], s[4:5], v[2:3]
	;; [unrolled: 1-line block ×4, first 2 shown]
	v_fma_f64 v[16:17], v[14:15], 0.5, v[18:19]
	v_fma_f64 v[18:19], v[10:11], s[2:3], v[22:23]
	v_fma_f64 v[22:23], v[30:31], 0.5, v[28:29]
	v_fma_f64 v[28:29], v[34:35], s[4:5], v[32:33]
	v_add_f64 v[2:3], v[6:7], v[8:9]
	v_add_f64 v[0:1], v[4:5], v[12:13]
	v_add_f64 v[6:7], v[6:7], -v[8:9]
	v_add_f64 v[4:5], v[4:5], -v[12:13]
	v_add_f64 v[8:9], v[20:21], v[16:17]
	v_add_f64 v[12:13], v[24:25], v[18:19]
	;; [unrolled: 1-line block ×4, first 2 shown]
	v_add_f64 v[16:17], v[20:21], -v[16:17]
	v_add_f64 v[20:21], v[24:25], -v[18:19]
	;; [unrolled: 1-line block ×4, first 2 shown]
	ds_store_b128 v69, v[0:3]
	ds_store_b128 v69, v[8:11] offset:2560
	ds_store_b128 v69, v[12:15] offset:5120
	;; [unrolled: 1-line block ×5, first 2 shown]
	s_waitcnt lgkmcnt(0)
	s_barrier
	buffer_gl0_inv
	s_and_saveexec_b32 s2, vcc_lo
	s_cbranch_execz .LBB0_21
; %bb.20:
	v_mul_lo_u32 v2, s1, v66
	v_mul_lo_u32 v3, s0, v67
	v_mad_u64_u32 v[0:1], null, s0, v66, 0
	v_dual_mov_b32 v69, 0 :: v_dual_add_nc_u32 v10, 0xa0, v68
	v_lshlrev_b64 v[8:9], 4, v[64:65]
	v_add_nc_u32_e32 v12, 0x140, v68
	v_lshl_add_u32 v20, v68, 4, 0
	s_delay_alu instid0(VALU_DEP_4) | instskip(SKIP_3) | instid1(VALU_DEP_3)
	v_mov_b32_e32 v11, v69
	v_add3_u32 v1, v1, v3, v2
	v_lshlrev_b64 v[15:16], 4, v[68:69]
	v_dual_mov_b32 v19, v69 :: v_dual_add_nc_u32 v18, 0x280, v68
	v_lshlrev_b64 v[13:14], 4, v[0:1]
	ds_load_b128 v[0:3], v20
	ds_load_b128 v[4:7], v20 offset:2560
	v_add_co_u32 v17, vcc_lo, s6, v13
	v_add_co_ci_u32_e32 v14, vcc_lo, s7, v14, vcc_lo
	v_mov_b32_e32 v13, v69
	s_delay_alu instid0(VALU_DEP_3) | instskip(NEXT) | instid1(VALU_DEP_3)
	v_add_co_u32 v36, vcc_lo, v17, v8
	v_add_co_ci_u32_e32 v37, vcc_lo, v14, v9, vcc_lo
	v_lshlrev_b64 v[8:9], 4, v[10:11]
	s_delay_alu instid0(VALU_DEP_3) | instskip(NEXT) | instid1(VALU_DEP_3)
	v_add_co_u32 v24, vcc_lo, v36, v15
	v_add_co_ci_u32_e32 v25, vcc_lo, v37, v16, vcc_lo
	v_add_nc_u32_e32 v16, 0x1e0, v68
	s_delay_alu instid0(VALU_DEP_4) | instskip(SKIP_4) | instid1(VALU_DEP_3)
	v_add_co_u32 v26, vcc_lo, v36, v8
	v_add_co_ci_u32_e32 v27, vcc_lo, v37, v9, vcc_lo
	v_lshlrev_b64 v[8:9], 4, v[12:13]
	v_dual_mov_b32 v17, v69 :: v_dual_add_nc_u32 v68, 0x320, v68
	v_lshlrev_b64 v[32:33], 4, v[18:19]
	v_add_co_u32 v28, vcc_lo, v36, v8
	s_delay_alu instid0(VALU_DEP_4)
	v_add_co_ci_u32_e32 v29, vcc_lo, v37, v9, vcc_lo
	ds_load_b128 v[8:11], v20 offset:5120
	ds_load_b128 v[12:15], v20 offset:7680
	v_lshlrev_b64 v[30:31], 4, v[16:17]
	ds_load_b128 v[16:19], v20 offset:10240
	ds_load_b128 v[20:23], v20 offset:12800
	v_lshlrev_b64 v[34:35], 4, v[68:69]
	v_add_co_u32 v30, vcc_lo, v36, v30
	v_add_co_ci_u32_e32 v31, vcc_lo, v37, v31, vcc_lo
	v_add_co_u32 v32, vcc_lo, v36, v32
	v_add_co_ci_u32_e32 v33, vcc_lo, v37, v33, vcc_lo
	v_add_co_u32 v34, vcc_lo, v36, v34
	v_add_co_ci_u32_e32 v35, vcc_lo, v37, v35, vcc_lo
	s_waitcnt lgkmcnt(5)
	global_store_b128 v[24:25], v[0:3], off
	s_waitcnt lgkmcnt(4)
	global_store_b128 v[26:27], v[4:7], off
	;; [unrolled: 2-line block ×6, first 2 shown]
.LBB0_21:
	s_nop 0
	s_sendmsg sendmsg(MSG_DEALLOC_VGPRS)
	s_endpgm
	.section	.rodata,"a",@progbits
	.p2align	6, 0x0
	.amdhsa_kernel fft_rtc_fwd_len960_factors_16_10_6_wgs_160_tpt_160_dp_op_CI_CI_unitstride_sbrr_dirReg
		.amdhsa_group_segment_fixed_size 0
		.amdhsa_private_segment_fixed_size 0
		.amdhsa_kernarg_size 104
		.amdhsa_user_sgpr_count 15
		.amdhsa_user_sgpr_dispatch_ptr 0
		.amdhsa_user_sgpr_queue_ptr 0
		.amdhsa_user_sgpr_kernarg_segment_ptr 1
		.amdhsa_user_sgpr_dispatch_id 0
		.amdhsa_user_sgpr_private_segment_size 0
		.amdhsa_wavefront_size32 1
		.amdhsa_uses_dynamic_stack 0
		.amdhsa_enable_private_segment 0
		.amdhsa_system_sgpr_workgroup_id_x 1
		.amdhsa_system_sgpr_workgroup_id_y 0
		.amdhsa_system_sgpr_workgroup_id_z 0
		.amdhsa_system_sgpr_workgroup_info 0
		.amdhsa_system_vgpr_workitem_id 0
		.amdhsa_next_free_vgpr 100
		.amdhsa_next_free_sgpr 27
		.amdhsa_reserve_vcc 1
		.amdhsa_float_round_mode_32 0
		.amdhsa_float_round_mode_16_64 0
		.amdhsa_float_denorm_mode_32 3
		.amdhsa_float_denorm_mode_16_64 3
		.amdhsa_dx10_clamp 1
		.amdhsa_ieee_mode 1
		.amdhsa_fp16_overflow 0
		.amdhsa_workgroup_processor_mode 1
		.amdhsa_memory_ordered 1
		.amdhsa_forward_progress 0
		.amdhsa_shared_vgpr_count 0
		.amdhsa_exception_fp_ieee_invalid_op 0
		.amdhsa_exception_fp_denorm_src 0
		.amdhsa_exception_fp_ieee_div_zero 0
		.amdhsa_exception_fp_ieee_overflow 0
		.amdhsa_exception_fp_ieee_underflow 0
		.amdhsa_exception_fp_ieee_inexact 0
		.amdhsa_exception_int_div_zero 0
	.end_amdhsa_kernel
	.text
.Lfunc_end0:
	.size	fft_rtc_fwd_len960_factors_16_10_6_wgs_160_tpt_160_dp_op_CI_CI_unitstride_sbrr_dirReg, .Lfunc_end0-fft_rtc_fwd_len960_factors_16_10_6_wgs_160_tpt_160_dp_op_CI_CI_unitstride_sbrr_dirReg
                                        ; -- End function
	.section	.AMDGPU.csdata,"",@progbits
; Kernel info:
; codeLenInByte = 6512
; NumSgprs: 29
; NumVgprs: 100
; ScratchSize: 0
; MemoryBound: 0
; FloatMode: 240
; IeeeMode: 1
; LDSByteSize: 0 bytes/workgroup (compile time only)
; SGPRBlocks: 3
; VGPRBlocks: 12
; NumSGPRsForWavesPerEU: 29
; NumVGPRsForWavesPerEU: 100
; Occupancy: 12
; WaveLimiterHint : 1
; COMPUTE_PGM_RSRC2:SCRATCH_EN: 0
; COMPUTE_PGM_RSRC2:USER_SGPR: 15
; COMPUTE_PGM_RSRC2:TRAP_HANDLER: 0
; COMPUTE_PGM_RSRC2:TGID_X_EN: 1
; COMPUTE_PGM_RSRC2:TGID_Y_EN: 0
; COMPUTE_PGM_RSRC2:TGID_Z_EN: 0
; COMPUTE_PGM_RSRC2:TIDIG_COMP_CNT: 0
	.text
	.p2alignl 7, 3214868480
	.fill 96, 4, 3214868480
	.type	__hip_cuid_cdef4924c7755a22,@object ; @__hip_cuid_cdef4924c7755a22
	.section	.bss,"aw",@nobits
	.globl	__hip_cuid_cdef4924c7755a22
__hip_cuid_cdef4924c7755a22:
	.byte	0                               ; 0x0
	.size	__hip_cuid_cdef4924c7755a22, 1

	.ident	"AMD clang version 19.0.0git (https://github.com/RadeonOpenCompute/llvm-project roc-6.4.0 25133 c7fe45cf4b819c5991fe208aaa96edf142730f1d)"
	.section	".note.GNU-stack","",@progbits
	.addrsig
	.addrsig_sym __hip_cuid_cdef4924c7755a22
	.amdgpu_metadata
---
amdhsa.kernels:
  - .args:
      - .actual_access:  read_only
        .address_space:  global
        .offset:         0
        .size:           8
        .value_kind:     global_buffer
      - .offset:         8
        .size:           8
        .value_kind:     by_value
      - .actual_access:  read_only
        .address_space:  global
        .offset:         16
        .size:           8
        .value_kind:     global_buffer
      - .actual_access:  read_only
        .address_space:  global
        .offset:         24
        .size:           8
        .value_kind:     global_buffer
      - .actual_access:  read_only
        .address_space:  global
        .offset:         32
        .size:           8
        .value_kind:     global_buffer
      - .offset:         40
        .size:           8
        .value_kind:     by_value
      - .actual_access:  read_only
        .address_space:  global
        .offset:         48
        .size:           8
        .value_kind:     global_buffer
      - .actual_access:  read_only
        .address_space:  global
        .offset:         56
        .size:           8
        .value_kind:     global_buffer
      - .offset:         64
        .size:           4
        .value_kind:     by_value
      - .actual_access:  read_only
        .address_space:  global
        .offset:         72
        .size:           8
        .value_kind:     global_buffer
      - .actual_access:  read_only
        .address_space:  global
        .offset:         80
        .size:           8
        .value_kind:     global_buffer
      - .actual_access:  read_only
        .address_space:  global
        .offset:         88
        .size:           8
        .value_kind:     global_buffer
      - .actual_access:  write_only
        .address_space:  global
        .offset:         96
        .size:           8
        .value_kind:     global_buffer
    .group_segment_fixed_size: 0
    .kernarg_segment_align: 8
    .kernarg_segment_size: 104
    .language:       OpenCL C
    .language_version:
      - 2
      - 0
    .max_flat_workgroup_size: 160
    .name:           fft_rtc_fwd_len960_factors_16_10_6_wgs_160_tpt_160_dp_op_CI_CI_unitstride_sbrr_dirReg
    .private_segment_fixed_size: 0
    .sgpr_count:     29
    .sgpr_spill_count: 0
    .symbol:         fft_rtc_fwd_len960_factors_16_10_6_wgs_160_tpt_160_dp_op_CI_CI_unitstride_sbrr_dirReg.kd
    .uniform_work_group_size: 1
    .uses_dynamic_stack: false
    .vgpr_count:     100
    .vgpr_spill_count: 0
    .wavefront_size: 32
    .workgroup_processor_mode: 1
amdhsa.target:   amdgcn-amd-amdhsa--gfx1100
amdhsa.version:
  - 1
  - 2
...

	.end_amdgpu_metadata
